;; amdgpu-corpus repo=ROCm/rocFFT kind=compiled arch=gfx1201 opt=O3
	.text
	.amdgcn_target "amdgcn-amd-amdhsa--gfx1201"
	.amdhsa_code_object_version 6
	.protected	fft_rtc_back_len336_factors_8_2_3_7_wgs_252_tpt_42_dim3_dp_op_CI_CI_sbcr_dirReg_intrinsicReadWrite ; -- Begin function fft_rtc_back_len336_factors_8_2_3_7_wgs_252_tpt_42_dim3_dp_op_CI_CI_sbcr_dirReg_intrinsicReadWrite
	.globl	fft_rtc_back_len336_factors_8_2_3_7_wgs_252_tpt_42_dim3_dp_op_CI_CI_sbcr_dirReg_intrinsicReadWrite
	.p2align	8
	.type	fft_rtc_back_len336_factors_8_2_3_7_wgs_252_tpt_42_dim3_dp_op_CI_CI_sbcr_dirReg_intrinsicReadWrite,@function
fft_rtc_back_len336_factors_8_2_3_7_wgs_252_tpt_42_dim3_dp_op_CI_CI_sbcr_dirReg_intrinsicReadWrite: ; @fft_rtc_back_len336_factors_8_2_3_7_wgs_252_tpt_42_dim3_dp_op_CI_CI_sbcr_dirReg_intrinsicReadWrite
; %bb.0:
	s_load_b128 s[4:7], s[0:1], 0x8
	s_mov_b32 s15, 0
	s_mov_b32 s2, 0xaaa80000
	s_movk_i32 s3, 0xaa
	s_mov_b32 s14, s15
	s_mov_b64 s[20:21], 0
	s_add_nc_u64 s[2:3], s[14:15], s[2:3]
	s_delay_alu instid0(SALU_CYCLE_1) | instskip(NEXT) | instid1(SALU_CYCLE_1)
	s_add_co_i32 s3, s3, 0x2aaaaa00
	s_mul_u64 s[8:9], s[2:3], -6
	s_delay_alu instid0(SALU_CYCLE_1)
	s_mul_hi_u32 s13, s2, s9
	s_mul_i32 s12, s2, s9
	s_mul_hi_u32 s14, s2, s8
	s_mul_i32 s17, s3, s8
	s_add_nc_u64 s[12:13], s[14:15], s[12:13]
	s_mul_hi_u32 s16, s3, s8
	s_mul_hi_u32 s18, s3, s9
	s_mul_i32 s8, s3, s9
	s_wait_kmcnt 0x0
	s_load_b64 s[10:11], s[4:5], 0x8
	s_add_co_u32 s9, s12, s17
	s_add_co_ci_u32 s14, s13, s16
	s_add_co_ci_u32 s9, s18, 0
	s_delay_alu instid0(SALU_CYCLE_1) | instskip(NEXT) | instid1(SALU_CYCLE_1)
	s_add_nc_u64 s[8:9], s[14:15], s[8:9]
	v_add_co_u32 v1, s2, s2, s8
	s_delay_alu instid0(VALU_DEP_1) | instskip(SKIP_1) | instid1(VALU_DEP_1)
	s_cmp_lg_u32 s2, 0
	s_add_co_ci_u32 s12, s3, s9
	v_readfirstlane_b32 s13, v1
	s_wait_kmcnt 0x0
	s_add_nc_u64 s[2:3], s[10:11], -1
	s_wait_alu 0xfffe
	s_mul_hi_u32 s9, s2, s12
	s_mul_i32 s8, s2, s12
	s_mul_hi_u32 s14, s2, s13
	s_mul_hi_u32 s17, s3, s13
	s_mul_i32 s13, s3, s13
	s_wait_alu 0xfffe
	s_add_nc_u64 s[8:9], s[14:15], s[8:9]
	s_mul_hi_u32 s16, s3, s12
	s_wait_alu 0xfffe
	s_add_co_u32 s8, s8, s13
	s_add_co_ci_u32 s14, s9, s17
	s_mul_i32 s12, s3, s12
	s_add_co_ci_u32 s13, s16, 0
	s_delay_alu instid0(SALU_CYCLE_1) | instskip(SKIP_2) | instid1(SALU_CYCLE_1)
	s_add_nc_u64 s[8:9], s[14:15], s[12:13]
	s_wait_alu 0xfffe
	s_mul_u64 s[12:13], s[8:9], 6
	v_sub_co_u32 v1, s2, s2, s12
	s_delay_alu instid0(VALU_DEP_1) | instskip(SKIP_1) | instid1(VALU_DEP_1)
	s_cmp_lg_u32 s2, 0
	s_sub_co_ci_u32 s14, s3, s13
	v_sub_co_u32 v2, s12, v1, 6
	s_delay_alu instid0(VALU_DEP_1) | instskip(SKIP_2) | instid1(VALU_DEP_2)
	s_cmp_lg_u32 s12, 0
	v_readfirstlane_b32 s17, v1
	s_sub_co_ci_u32 s12, s14, 0
	v_readfirstlane_b32 s2, v2
	s_delay_alu instid0(VALU_DEP_1)
	s_cmp_gt_u32 s2, 5
	s_add_nc_u64 s[2:3], s[8:9], 1
	s_cselect_b32 s16, -1, 0
	s_wait_alu 0xfffe
	s_cmp_eq_u32 s12, 0
	s_add_nc_u64 s[12:13], s[8:9], 2
	s_cselect_b32 s16, s16, -1
	s_delay_alu instid0(SALU_CYCLE_1)
	s_cmp_lg_u32 s16, 0
	s_wait_alu 0xfffe
	s_cselect_b32 s2, s12, s2
	s_cselect_b32 s3, s13, s3
	s_cmp_gt_u32 s17, 5
	s_cselect_b32 s12, -1, 0
	s_cmp_eq_u32 s14, 0
	s_mov_b32 s14, ttmp9
	s_wait_alu 0xfffe
	s_cselect_b32 s12, s12, -1
	s_wait_alu 0xfffe
	s_cmp_lg_u32 s12, 0
	s_cselect_b32 s3, s3, s9
	s_cselect_b32 s2, s2, s8
	s_wait_alu 0xfffe
	s_add_nc_u64 s[16:17], s[2:3], 1
	s_delay_alu instid0(SALU_CYCLE_1) | instskip(NEXT) | instid1(VALU_DEP_1)
	v_cmp_lt_u64_e64 s2, s[14:15], s[16:17]
	s_and_b32 vcc_lo, exec_lo, s2
	s_cbranch_vccnz .LBB0_2
; %bb.1:
	v_cvt_f32_u32_e32 v1, s16
	s_sub_co_i32 s3, 0, s16
	s_mov_b32 s21, s15
	s_delay_alu instid0(VALU_DEP_1) | instskip(NEXT) | instid1(TRANS32_DEP_1)
	v_rcp_iflag_f32_e32 v1, v1
	v_mul_f32_e32 v1, 0x4f7ffffe, v1
	s_delay_alu instid0(VALU_DEP_1) | instskip(NEXT) | instid1(VALU_DEP_1)
	v_cvt_u32_f32_e32 v1, v1
	v_readfirstlane_b32 s2, v1
	s_wait_alu 0xfffe
	s_delay_alu instid0(VALU_DEP_1)
	s_mul_i32 s3, s3, s2
	s_wait_alu 0xfffe
	s_mul_hi_u32 s3, s2, s3
	s_wait_alu 0xfffe
	s_add_co_i32 s2, s2, s3
	s_wait_alu 0xfffe
	s_mul_hi_u32 s2, s14, s2
	s_wait_alu 0xfffe
	s_mul_i32 s3, s2, s16
	s_add_co_i32 s8, s2, 1
	s_wait_alu 0xfffe
	s_sub_co_i32 s3, s14, s3
	s_wait_alu 0xfffe
	s_sub_co_i32 s9, s3, s16
	s_cmp_ge_u32 s3, s16
	s_cselect_b32 s2, s8, s2
	s_wait_alu 0xfffe
	s_cselect_b32 s3, s9, s3
	s_add_co_i32 s8, s2, 1
	s_wait_alu 0xfffe
	s_cmp_ge_u32 s3, s16
	s_cselect_b32 s20, s8, s2
.LBB0_2:
	s_load_b64 s[12:13], s[4:5], 0x10
	s_load_b64 s[18:19], s[6:7], 0x8
	s_wait_kmcnt 0x0
	v_cmp_lt_u64_e64 s2, s[20:21], s[12:13]
	s_delay_alu instid0(VALU_DEP_1)
	s_and_b32 vcc_lo, exec_lo, s2
	s_mov_b64 s[2:3], s[20:21]
	s_cbranch_vccnz .LBB0_4
; %bb.3:
	v_cvt_f32_u32_e32 v1, s12
	s_sub_co_i32 s3, 0, s12
	s_delay_alu instid0(VALU_DEP_1) | instskip(NEXT) | instid1(TRANS32_DEP_1)
	v_rcp_iflag_f32_e32 v1, v1
	v_mul_f32_e32 v1, 0x4f7ffffe, v1
	s_delay_alu instid0(VALU_DEP_1) | instskip(NEXT) | instid1(VALU_DEP_1)
	v_cvt_u32_f32_e32 v1, v1
	v_readfirstlane_b32 s2, v1
	s_wait_alu 0xfffe
	s_delay_alu instid0(VALU_DEP_1)
	s_mul_i32 s3, s3, s2
	s_wait_alu 0xfffe
	s_mul_hi_u32 s3, s2, s3
	s_wait_alu 0xfffe
	s_add_co_i32 s2, s2, s3
	s_wait_alu 0xfffe
	s_mul_hi_u32 s2, s20, s2
	s_wait_alu 0xfffe
	s_mul_i32 s2, s2, s12
	s_wait_alu 0xfffe
	s_sub_co_i32 s2, s20, s2
	s_wait_alu 0xfffe
	s_sub_co_i32 s3, s2, s12
	s_cmp_ge_u32 s2, s12
	s_wait_alu 0xfffe
	s_cselect_b32 s2, s3, s2
	s_mov_b32 s3, 0
	s_wait_alu 0xfffe
	s_sub_co_i32 s4, s2, s12
	s_cmp_ge_u32 s2, s12
	s_cselect_b32 s2, s4, s2
.LBB0_4:
	s_load_b64 s[4:5], s[0:1], 0x50
	s_clause 0x1
	s_load_b64 s[8:9], s[6:7], 0x0
	s_load_b64 s[22:23], s[6:7], 0x10
	s_mul_u64 s[24:25], s[12:13], s[16:17]
	s_mov_b64 s[12:13], 0
	s_wait_kmcnt 0x0
	v_cmp_lt_u64_e64 s9, s[14:15], s[24:25]
	s_delay_alu instid0(VALU_DEP_1)
	s_and_b32 vcc_lo, exec_lo, s9
	s_cbranch_vccnz .LBB0_6
; %bb.5:
	v_cvt_f32_u32_e32 v1, s24
	s_sub_co_i32 s12, 0, s24
	s_delay_alu instid0(VALU_DEP_1) | instskip(NEXT) | instid1(TRANS32_DEP_1)
	v_rcp_iflag_f32_e32 v1, v1
	v_mul_f32_e32 v1, 0x4f7ffffe, v1
	s_delay_alu instid0(VALU_DEP_1) | instskip(NEXT) | instid1(VALU_DEP_1)
	v_cvt_u32_f32_e32 v1, v1
	v_readfirstlane_b32 s9, v1
	s_wait_alu 0xfffe
	s_delay_alu instid0(VALU_DEP_1)
	s_mul_i32 s12, s12, s9
	s_wait_alu 0xfffe
	s_mul_hi_u32 s12, s9, s12
	s_wait_alu 0xfffe
	s_add_co_i32 s9, s9, s12
	s_wait_alu 0xfffe
	s_mul_hi_u32 s9, s14, s9
	s_wait_alu 0xfffe
	s_mul_i32 s12, s9, s24
	s_add_co_i32 s13, s9, 1
	s_wait_alu 0xfffe
	s_sub_co_i32 s12, s14, s12
	s_wait_alu 0xfffe
	s_sub_co_i32 s25, s12, s24
	s_cmp_ge_u32 s12, s24
	s_cselect_b32 s9, s13, s9
	s_wait_alu 0xfffe
	s_cselect_b32 s12, s25, s12
	s_add_co_i32 s25, s9, 1
	s_wait_alu 0xfffe
	s_cmp_ge_u32 s12, s24
	s_mov_b32 s13, 0
	s_cselect_b32 s12, s25, s9
.LBB0_6:
	v_mul_u32_u24_e32 v1, 0x2aab, v0
	s_load_b64 s[6:7], s[6:7], 0x18
	s_mul_u64 s[16:17], s[20:21], s[16:17]
	v_mov_b32_e32 v3, 0
	s_wait_alu 0xfffe
	s_sub_nc_u64 s[14:15], s[14:15], s[16:17]
	v_lshrrev_b32_e32 v57, 16, v1
	s_wait_alu 0xfffe
	s_mul_u64 s[14:15], s[14:15], 6
	s_mul_u64 s[16:17], s[22:23], s[2:3]
	s_wait_alu 0xfffe
	s_add_nc_u64 s[22:23], s[14:15], 6
	s_mul_u64 s[20:21], s[18:19], s[14:15]
	v_mul_lo_u16 v1, v57, 6
	v_cmp_gt_u64_e64 s33, s[22:23], s[10:11]
	s_wait_alu 0xfffe
	s_add_nc_u64 s[16:17], s[16:17], s[20:21]
	v_mov_b32_e32 v4, 0
	v_sub_nc_u16 v1, v0, v1
	s_delay_alu instid0(VALU_DEP_2) | instskip(NEXT) | instid1(VALU_DEP_2)
	v_dual_mov_b32 v8, v4 :: v_dual_mov_b32 v7, v3
	v_and_b32_e32 v35, 0xffff, v1
	s_wait_kmcnt 0x0
	s_mul_u64 s[6:7], s[6:7], s[12:13]
	s_wait_alu 0xfffe
	s_add_nc_u64 s[6:7], s[6:7], s[16:17]
	v_mad_co_u64_u32 v[33:34], null, s18, v35, 0
	v_add_co_u32 v5, s9, s14, v35
	s_wait_alu 0xf1ff
	v_add_co_ci_u32_e64 v6, null, s15, 0, s9
	v_cmp_le_u64_e64 s9, s[22:23], s[10:11]
	s_delay_alu instid0(VALU_DEP_4) | instskip(NEXT) | instid1(VALU_DEP_3)
	v_mov_b32_e32 v1, v34
	v_cmp_gt_u64_e32 vcc_lo, s[10:11], v[5:6]
	v_dual_mov_b32 v6, v4 :: v_dual_mov_b32 v5, v3
	s_delay_alu instid0(VALU_DEP_3) | instskip(SKIP_1) | instid1(SALU_CYCLE_1)
	v_mad_co_u64_u32 v[1:2], null, s19, v35, v[1:2]
	s_or_b32 s7, s9, vcc_lo
	s_and_saveexec_b32 s9, s7
	s_cbranch_execz .LBB0_8
; %bb.7:
	v_mul_lo_u32 v1, s8, v57
	v_mov_b32_e32 v2, 0
	s_delay_alu instid0(VALU_DEP_2) | instskip(NEXT) | instid1(VALU_DEP_1)
	v_add3_u32 v1, s6, v33, v1
	v_lshlrev_b64_e32 v[1:2], 4, v[1:2]
	s_delay_alu instid0(VALU_DEP_1) | instskip(NEXT) | instid1(VALU_DEP_2)
	v_add_co_u32 v1, vcc_lo, s4, v1
	v_add_co_ci_u32_e32 v2, vcc_lo, s5, v2, vcc_lo
	global_load_b128 v[5:8], v[1:2], off
.LBB0_8:
	s_wait_alu 0xfffe
	s_or_b32 exec_lo, exec_lo, s9
	v_dual_mov_b32 v1, v3 :: v_dual_add_nc_u32 v58, 42, v57
	v_mov_b32_e32 v2, v4
	s_and_saveexec_b32 s9, s7
	s_cbranch_execz .LBB0_10
; %bb.9:
	s_delay_alu instid0(VALU_DEP_2) | instskip(SKIP_1) | instid1(VALU_DEP_2)
	v_mul_lo_u32 v1, s8, v58
	v_mov_b32_e32 v2, 0
	v_add3_u32 v1, s6, v33, v1
	s_delay_alu instid0(VALU_DEP_1) | instskip(NEXT) | instid1(VALU_DEP_1)
	v_lshlrev_b64_e32 v[1:2], 4, v[1:2]
	v_add_co_u32 v1, vcc_lo, s4, v1
	s_wait_alu 0xfffd
	s_delay_alu instid0(VALU_DEP_2)
	v_add_co_ci_u32_e32 v2, vcc_lo, s5, v2, vcc_lo
	global_load_b128 v[1:4], v[1:2], off
.LBB0_10:
	s_wait_alu 0xfffe
	s_or_b32 exec_lo, exec_lo, s9
	v_mov_b32_e32 v11, 0
	v_dual_mov_b32 v12, 0 :: v_dual_add_nc_u32 v37, 0x54, v57
	s_delay_alu instid0(VALU_DEP_1)
	v_dual_mov_b32 v16, v12 :: v_dual_mov_b32 v15, v11
	v_dual_mov_b32 v14, v12 :: v_dual_mov_b32 v13, v11
	s_and_saveexec_b32 s9, s7
	s_cbranch_execz .LBB0_12
; %bb.11:
	v_mul_lo_u32 v9, s8, v37
	v_mov_b32_e32 v10, 0
	s_delay_alu instid0(VALU_DEP_2) | instskip(NEXT) | instid1(VALU_DEP_1)
	v_add3_u32 v9, s6, v33, v9
	v_lshlrev_b64_e32 v[9:10], 4, v[9:10]
	s_delay_alu instid0(VALU_DEP_1) | instskip(SKIP_1) | instid1(VALU_DEP_2)
	v_add_co_u32 v9, vcc_lo, s4, v9
	s_wait_alu 0xfffd
	v_add_co_ci_u32_e32 v10, vcc_lo, s5, v10, vcc_lo
	global_load_b128 v[13:16], v[9:10], off
.LBB0_12:
	s_wait_alu 0xfffe
	s_or_b32 exec_lo, exec_lo, s9
	v_dual_mov_b32 v9, v11 :: v_dual_add_nc_u32 v34, 0x7e, v57
	v_mov_b32_e32 v10, v12
	s_and_saveexec_b32 s9, s7
	s_cbranch_execz .LBB0_14
; %bb.13:
	s_delay_alu instid0(VALU_DEP_2) | instskip(SKIP_1) | instid1(VALU_DEP_2)
	v_mul_lo_u32 v9, s8, v34
	v_mov_b32_e32 v10, 0
	v_add3_u32 v9, s6, v33, v9
	s_delay_alu instid0(VALU_DEP_1) | instskip(NEXT) | instid1(VALU_DEP_1)
	v_lshlrev_b64_e32 v[9:10], 4, v[9:10]
	v_add_co_u32 v9, vcc_lo, s4, v9
	s_wait_alu 0xfffd
	s_delay_alu instid0(VALU_DEP_2)
	v_add_co_ci_u32_e32 v10, vcc_lo, s5, v10, vcc_lo
	global_load_b128 v[9:12], v[9:10], off
.LBB0_14:
	s_wait_alu 0xfffe
	s_or_b32 exec_lo, exec_lo, s9
	v_mov_b32_e32 v19, 0
	v_mov_b32_e32 v20, 0
	s_delay_alu instid0(VALU_DEP_1)
	v_dual_mov_b32 v24, v20 :: v_dual_mov_b32 v23, v19
	v_dual_mov_b32 v22, v20 :: v_dual_mov_b32 v21, v19
	s_and_saveexec_b32 s9, s7
	s_cbranch_execz .LBB0_16
; %bb.15:
	v_dual_mov_b32 v18, 0 :: v_dual_add_nc_u32 v17, 0xa8, v57
	s_delay_alu instid0(VALU_DEP_1) | instskip(NEXT) | instid1(VALU_DEP_1)
	v_mul_lo_u32 v17, s8, v17
	v_add3_u32 v17, s6, v33, v17
	s_delay_alu instid0(VALU_DEP_1) | instskip(NEXT) | instid1(VALU_DEP_1)
	v_lshlrev_b64_e32 v[17:18], 4, v[17:18]
	v_add_co_u32 v17, vcc_lo, s4, v17
	s_wait_alu 0xfffd
	s_delay_alu instid0(VALU_DEP_2)
	v_add_co_ci_u32_e32 v18, vcc_lo, s5, v18, vcc_lo
	global_load_b128 v[21:24], v[17:18], off
.LBB0_16:
	s_wait_alu 0xfffe
	s_or_b32 exec_lo, exec_lo, s9
	v_dual_mov_b32 v17, v19 :: v_dual_mov_b32 v18, v20
	s_and_saveexec_b32 s9, s7
	s_cbranch_execz .LBB0_18
; %bb.17:
	v_dual_mov_b32 v18, 0 :: v_dual_add_nc_u32 v17, 0xd2, v57
	s_delay_alu instid0(VALU_DEP_1) | instskip(NEXT) | instid1(VALU_DEP_1)
	v_mul_lo_u32 v17, s8, v17
	v_add3_u32 v17, s6, v33, v17
	s_delay_alu instid0(VALU_DEP_1) | instskip(NEXT) | instid1(VALU_DEP_1)
	v_lshlrev_b64_e32 v[17:18], 4, v[17:18]
	v_add_co_u32 v17, vcc_lo, s4, v17
	s_wait_alu 0xfffd
	s_delay_alu instid0(VALU_DEP_2)
	v_add_co_ci_u32_e32 v18, vcc_lo, s5, v18, vcc_lo
	global_load_b128 v[17:20], v[17:18], off
.LBB0_18:
	s_wait_alu 0xfffe
	s_or_b32 exec_lo, exec_lo, s9
	s_clause 0x1
	s_load_b64 s[10:11], s[0:1], 0x18
	s_load_b64 s[16:17], s[0:1], 0x0
	v_mov_b32_e32 v27, 0
	v_mov_b32_e32 v28, 0
	s_delay_alu instid0(VALU_DEP_1)
	v_dual_mov_b32 v32, v28 :: v_dual_mov_b32 v31, v27
	v_dual_mov_b32 v30, v28 :: v_dual_mov_b32 v29, v27
	s_and_saveexec_b32 s9, s7
	s_cbranch_execz .LBB0_20
; %bb.19:
	v_dual_mov_b32 v26, 0 :: v_dual_add_nc_u32 v25, 0xfc, v57
	s_delay_alu instid0(VALU_DEP_1) | instskip(NEXT) | instid1(VALU_DEP_1)
	v_mul_lo_u32 v25, s8, v25
	v_add3_u32 v25, s6, v33, v25
	s_delay_alu instid0(VALU_DEP_1) | instskip(NEXT) | instid1(VALU_DEP_1)
	v_lshlrev_b64_e32 v[25:26], 4, v[25:26]
	v_add_co_u32 v25, vcc_lo, s4, v25
	s_wait_alu 0xfffd
	s_delay_alu instid0(VALU_DEP_2)
	v_add_co_ci_u32_e32 v26, vcc_lo, s5, v26, vcc_lo
	global_load_b128 v[29:32], v[25:26], off
.LBB0_20:
	s_wait_alu 0xfffe
	s_or_b32 exec_lo, exec_lo, s9
	v_dual_mov_b32 v25, v27 :: v_dual_mov_b32 v26, v28
	s_and_saveexec_b32 s9, s7
	s_cbranch_execz .LBB0_22
; %bb.21:
	v_dual_mov_b32 v26, 0 :: v_dual_add_nc_u32 v25, 0x126, v57
	s_delay_alu instid0(VALU_DEP_1) | instskip(NEXT) | instid1(VALU_DEP_1)
	v_mul_lo_u32 v25, s8, v25
	v_add3_u32 v25, s6, v33, v25
	s_delay_alu instid0(VALU_DEP_1) | instskip(NEXT) | instid1(VALU_DEP_1)
	v_lshlrev_b64_e32 v[25:26], 4, v[25:26]
	v_add_co_u32 v25, vcc_lo, s4, v25
	s_wait_alu 0xfffd
	s_delay_alu instid0(VALU_DEP_2)
	v_add_co_ci_u32_e32 v26, vcc_lo, s5, v26, vcc_lo
	global_load_b128 v[25:28], v[25:26], off
.LBB0_22:
	s_wait_alu 0xfffe
	s_or_b32 exec_lo, exec_lo, s9
	s_wait_loadcnt 0x0
	v_add_f64_e64 v[21:22], v[5:6], -v[21:22]
	v_add_f64_e64 v[23:24], v[7:8], -v[23:24]
	;; [unrolled: 1-line block ×8, first 2 shown]
	s_mov_b32 s4, 0x667f3bcd
	s_mov_b32 s5, 0xbfe6a09e
	;; [unrolled: 1-line block ×3, first 2 shown]
	s_wait_alu 0xfffe
	s_mov_b32 s6, s4
	v_mul_u32_u24_e32 v33, 48, v57
	v_lshlrev_b32_e32 v60, 4, v35
	v_cmp_gt_u32_e32 vcc_lo, 0xa8, v0
	s_delay_alu instid0(VALU_DEP_3) | instskip(NEXT) | instid1(VALU_DEP_1)
	v_lshlrev_b32_e32 v33, 4, v33
	v_add3_u32 v33, 0, v33, v60
	s_delay_alu instid0(VALU_DEP_1)
	v_mad_i32_i24 v59, 0xfffffd60, v57, v33
	v_fma_f64 v[5:6], v[5:6], 2.0, -v[21:22]
	v_fma_f64 v[7:8], v[7:8], 2.0, -v[23:24]
	;; [unrolled: 1-line block ×8, first 2 shown]
	v_add_f64_e32 v[31:32], v[21:22], v[31:32]
	v_add_f64_e64 v[29:30], v[23:24], -v[29:30]
	v_add_f64_e32 v[27:28], v[17:18], v[27:28]
	v_add_f64_e64 v[25:26], v[19:20], -v[25:26]
	v_add_f64_e64 v[38:39], v[5:6], -v[13:14]
	;; [unrolled: 1-line block ×5, first 2 shown]
	v_fma_f64 v[42:43], v[21:22], 2.0, -v[31:32]
	v_fma_f64 v[44:45], v[23:24], 2.0, -v[29:30]
	;; [unrolled: 1-line block ×4, first 2 shown]
	s_wait_alu 0xfffe
	v_fma_f64 v[17:18], v[27:28], s[6:7], v[31:32]
	v_fma_f64 v[19:20], v[25:26], s[6:7], v[29:30]
	v_fma_f64 v[46:47], v[5:6], 2.0, -v[38:39]
	v_fma_f64 v[48:49], v[7:8], 2.0, -v[40:41]
	;; [unrolled: 1-line block ×4, first 2 shown]
	v_add_f64_e32 v[1:2], v[38:39], v[11:12]
	v_add_f64_e64 v[3:4], v[40:41], -v[9:10]
	v_fma_f64 v[50:51], v[15:16], s[4:5], v[42:43]
	v_fma_f64 v[52:53], v[13:14], s[4:5], v[44:45]
	;; [unrolled: 1-line block ×4, first 2 shown]
	v_add_f64_e64 v[9:10], v[46:47], -v[21:22]
	v_add_f64_e64 v[11:12], v[48:49], -v[23:24]
	v_fma_f64 v[17:18], v[38:39], 2.0, -v[1:2]
	v_fma_f64 v[19:20], v[40:41], 2.0, -v[3:4]
	v_fma_f64 v[13:14], v[13:14], s[6:7], v[50:51]
	v_fma_f64 v[15:16], v[15:16], s[4:5], v[52:53]
	v_fma_f64 v[21:22], v[31:32], 2.0, -v[5:6]
	v_fma_f64 v[23:24], v[29:30], 2.0, -v[7:8]
	v_and_b32_e32 v50, 7, v37
	v_and_b32_e32 v51, 7, v34
	s_wait_kmcnt 0x0
	s_load_b256 s[4:11], s[10:11], 0x0
	s_delay_alu instid0(VALU_DEP_2)
	v_lshlrev_b32_e32 v38, 4, v50
	v_fma_f64 v[25:26], v[46:47], 2.0, -v[9:10]
	v_fma_f64 v[27:28], v[48:49], 2.0, -v[11:12]
	v_and_b32_e32 v48, 7, v57
	v_and_b32_e32 v49, 7, v58
	v_fma_f64 v[29:30], v[42:43], 2.0, -v[13:14]
	v_fma_f64 v[31:32], v[44:45], 2.0, -v[15:16]
	ds_store_b128 v33, v[1:4] offset:576
	ds_store_b128 v33, v[5:8] offset:672
	;; [unrolled: 1-line block ×6, first 2 shown]
	ds_store_b128 v33, v[25:28]
	ds_store_b128 v33, v[29:32] offset:96
	v_lshlrev_b32_e32 v35, 4, v48
	v_lshlrev_b32_e32 v36, 4, v49
	global_wb scope:SCOPE_SE
	s_wait_dscnt 0x0
	s_wait_kmcnt 0x0
	s_barrier_signal -1
	s_barrier_wait -1
	global_inv scope:SCOPE_SE
	global_load_b128 v[1:4], v35, s[16:17]
	v_lshlrev_b32_e32 v13, 4, v51
	s_clause 0x2
	global_load_b128 v[5:8], v36, s[16:17]
	global_load_b128 v[9:12], v38, s[16:17]
	;; [unrolled: 1-line block ×3, first 2 shown]
	ds_load_b128 v[17:20], v59 offset:16128
	ds_load_b128 v[21:24], v59 offset:20160
	;; [unrolled: 1-line block ×5, first 2 shown]
	s_wait_loadcnt_dscnt 0x304
	v_mul_f64_e32 v[35:36], v[19:20], v[3:4]
	v_mul_f64_e32 v[3:4], v[17:18], v[3:4]
	s_wait_loadcnt_dscnt 0x203
	v_mul_f64_e32 v[42:43], v[23:24], v[7:8]
	v_mul_f64_e32 v[7:8], v[21:22], v[7:8]
	;; [unrolled: 3-line block ×4, first 2 shown]
	v_fma_f64 v[17:18], v[17:18], v[1:2], v[35:36]
	v_fma_f64 v[1:2], v[19:20], v[1:2], -v[3:4]
	v_fma_f64 v[3:4], v[21:22], v[5:6], v[42:43]
	v_fma_f64 v[23:24], v[23:24], v[5:6], -v[7:8]
	;; [unrolled: 2-line block ×4, first 2 shown]
	v_add_nc_u32_e32 v13, 0x2800, v59
	ds_load_b128 v[5:8], v59
	ds_load_b128 v[9:12], v59 offset:4032
	ds_load_2addr_b64 v[13:16], v13 offset0:232 offset1:233
	global_wb scope:SCOPE_SE
	s_wait_dscnt 0x0
	s_barrier_signal -1
	s_barrier_wait -1
	global_inv scope:SCOPE_SE
                                        ; implicit-def: $vgpr35_vgpr36
	v_add_f64_e64 v[17:18], v[5:6], -v[17:18]
	v_add_f64_e64 v[19:20], v[7:8], -v[1:2]
	;; [unrolled: 1-line block ×8, first 2 shown]
	v_fma_f64 v[5:6], v[5:6], 2.0, -v[17:18]
	v_fma_f64 v[7:8], v[7:8], 2.0, -v[19:20]
	;; [unrolled: 1-line block ×8, first 2 shown]
	v_lshlrev_b32_e32 v13, 1, v57
	v_lshlrev_b32_e32 v14, 1, v58
	;; [unrolled: 1-line block ×4, first 2 shown]
	s_delay_alu instid0(VALU_DEP_4) | instskip(NEXT) | instid1(VALU_DEP_4)
	v_and_or_b32 v13, 0x70, v13, v48
	v_and_or_b32 v14, 0xf0, v14, v49
	s_delay_alu instid0(VALU_DEP_4) | instskip(NEXT) | instid1(VALU_DEP_4)
	v_and_or_b32 v15, 0x1f0, v15, v50
	v_and_or_b32 v16, 0x1f0, v16, v51
	s_delay_alu instid0(VALU_DEP_4) | instskip(NEXT) | instid1(VALU_DEP_4)
	v_mul_u32_u24_e32 v13, 0x60, v13
	v_mul_u32_u24_e32 v14, 0x60, v14
	s_delay_alu instid0(VALU_DEP_4) | instskip(NEXT) | instid1(VALU_DEP_4)
	v_mul_u32_u24_e32 v15, 0x60, v15
	v_mul_u32_u24_e32 v16, 0x60, v16
	s_delay_alu instid0(VALU_DEP_4) | instskip(NEXT) | instid1(VALU_DEP_4)
	v_add3_u32 v13, 0, v13, v60
	v_add3_u32 v14, 0, v14, v60
	s_delay_alu instid0(VALU_DEP_4) | instskip(NEXT) | instid1(VALU_DEP_4)
	v_add3_u32 v15, 0, v15, v60
	v_add3_u32 v16, 0, v16, v60
	ds_store_b128 v13, v[5:8]
	ds_store_b128 v13, v[17:20] offset:768
	ds_store_b128 v14, v[29:32]
	ds_store_b128 v14, v[21:24] offset:768
	;; [unrolled: 2-line block ×4, first 2 shown]
	global_wb scope:SCOPE_SE
	s_wait_dscnt 0x0
	s_barrier_signal -1
	s_barrier_wait -1
	global_inv scope:SCOPE_SE
	ds_load_b128 v[13:16], v59
	ds_load_b128 v[5:8], v59 offset:4032
	ds_load_b128 v[25:28], v59 offset:10752
	;; [unrolled: 1-line block ×5, first 2 shown]
	s_and_saveexec_b32 s18, vcc_lo
	s_cbranch_execz .LBB0_24
; %bb.23:
	v_add_nc_u32_e32 v1, 0x1f80, v59
	ds_load_b128 v[9:12], v1
	ds_load_b128 v[1:4], v59 offset:18816
	ds_load_b128 v[33:36], v59 offset:29568
.LBB0_24:
	s_wait_alu 0xfffe
	s_or_b32 exec_lo, exec_lo, s18
	v_and_b32_e32 v79, 15, v57
	v_and_b32_e32 v80, 15, v58
	;; [unrolled: 1-line block ×3, first 2 shown]
	s_mov_b32 s18, 0xe8584caa
	s_mov_b32 s19, 0xbfebb67a
	v_lshlrev_b32_e32 v43, 5, v79
	v_lshlrev_b32_e32 v51, 5, v80
	;; [unrolled: 1-line block ×3, first 2 shown]
	s_mov_b32 s21, 0x3febb67a
	s_wait_alu 0xfffe
	s_mov_b32 s20, s18
	s_clause 0x5
	global_load_b128 v[39:42], v43, s[16:17] offset:128
	global_load_b128 v[43:46], v43, s[16:17] offset:144
	;; [unrolled: 1-line block ×6, first 2 shown]
	global_wb scope:SCOPE_SE
	s_wait_loadcnt_dscnt 0x0
	s_barrier_signal -1
	s_barrier_wait -1
	global_inv scope:SCOPE_SE
	v_mul_f64_e32 v[71:72], v[19:20], v[49:50]
	v_mul_f64_e32 v[55:56], v[27:28], v[41:42]
	;; [unrolled: 1-line block ×12, first 2 shown]
	v_fma_f64 v[25:26], v[25:26], v[39:40], v[55:56]
	v_fma_f64 v[29:30], v[29:30], v[43:44], v[69:70]
	v_fma_f64 v[27:28], v[27:28], v[39:40], -v[41:42]
	v_fma_f64 v[31:32], v[31:32], v[43:44], -v[45:46]
	v_fma_f64 v[39:40], v[17:18], v[47:48], v[71:72]
	v_fma_f64 v[41:42], v[21:22], v[51:52], v[73:74]
	v_fma_f64 v[43:44], v[19:20], v[47:48], -v[49:50]
	v_fma_f64 v[45:46], v[23:24], v[51:52], -v[53:54]
	;; [unrolled: 4-line block ×3, first 2 shown]
	v_add_f64_e32 v[51:52], v[13:14], v[25:26]
	v_add_f64_e32 v[1:2], v[25:26], v[29:30]
	v_add_f64_e64 v[63:64], v[25:26], -v[29:30]
	v_add_f64_e32 v[3:4], v[27:28], v[31:32]
	v_add_f64_e64 v[53:54], v[27:28], -v[31:32]
	v_add_f64_e32 v[33:34], v[39:40], v[41:42]
	v_add_f64_e32 v[27:28], v[15:16], v[27:28]
	;; [unrolled: 1-line block ×7, first 2 shown]
	v_add_f64_e64 v[43:44], v[43:44], -v[45:46]
	v_add_f64_e64 v[65:66], v[39:40], -v[41:42]
	;; [unrolled: 1-line block ×4, first 2 shown]
	v_fma_f64 v[1:2], v[1:2], -0.5, v[13:14]
	v_add_f64_e32 v[13:14], v[51:52], v[29:30]
	v_fma_f64 v[3:4], v[3:4], -0.5, v[15:16]
	v_fma_f64 v[5:6], v[33:34], -0.5, v[5:6]
	v_add_f64_e32 v[15:16], v[27:28], v[31:32]
	v_fma_f64 v[7:8], v[35:36], -0.5, v[7:8]
	v_add_f64_e32 v[25:26], v[55:56], v[41:42]
	;; [unrolled: 2-line block ×3, first 2 shown]
	v_fma_f64 v[49:50], v[49:50], -0.5, v[11:12]
	v_fma_f64 v[29:30], v[53:54], s[18:19], v[1:2]
	s_wait_alu 0xfffe
	v_fma_f64 v[33:34], v[53:54], s[20:21], v[1:2]
	v_fma_f64 v[31:32], v[63:64], s[20:21], v[3:4]
	;; [unrolled: 1-line block ×11, first 2 shown]
	v_lshrrev_b32_e32 v47, 4, v57
	v_lshrrev_b32_e32 v48, 4, v58
	s_delay_alu instid0(VALU_DEP_2) | instskip(NEXT) | instid1(VALU_DEP_2)
	v_mul_u32_u24_e32 v47, 48, v47
	v_mul_u32_u24_e32 v48, 48, v48
	s_delay_alu instid0(VALU_DEP_2) | instskip(NEXT) | instid1(VALU_DEP_2)
	v_or_b32_e32 v47, v47, v79
	v_or_b32_e32 v48, v48, v80
	s_delay_alu instid0(VALU_DEP_2) | instskip(NEXT) | instid1(VALU_DEP_2)
	v_mul_u32_u24_e32 v47, 0x60, v47
	v_mul_u32_u24_e32 v48, 0x60, v48
	s_delay_alu instid0(VALU_DEP_2) | instskip(NEXT) | instid1(VALU_DEP_2)
	v_add3_u32 v47, 0, v47, v60
	v_add3_u32 v48, 0, v48, v60
	ds_store_b128 v47, v[13:16]
	ds_store_b128 v47, v[29:32] offset:1536
	ds_store_b128 v47, v[33:36] offset:3072
	ds_store_b128 v48, v[25:28]
	ds_store_b128 v48, v[39:42] offset:1536
	ds_store_b128 v48, v[43:46] offset:3072
	s_and_saveexec_b32 s18, vcc_lo
	s_cbranch_execz .LBB0_26
; %bb.25:
	v_add_f64_e32 v[11:12], v[11:12], v[23:24]
	v_add_f64_e32 v[9:10], v[9:10], v[19:20]
	v_lshrrev_b32_e32 v13, 4, v37
	s_delay_alu instid0(VALU_DEP_1) | instskip(NEXT) | instid1(VALU_DEP_1)
	v_mul_u32_u24_e32 v13, 48, v13
	v_or_b32_e32 v13, v13, v38
	s_delay_alu instid0(VALU_DEP_1) | instskip(NEXT) | instid1(VALU_DEP_1)
	v_mul_u32_u24_e32 v13, 0x60, v13
	v_add3_u32 v13, 0, v13, v60
	v_add_f64_e32 v[11:12], v[11:12], v[21:22]
	v_add_f64_e32 v[9:10], v[9:10], v[17:18]
	ds_store_b128 v13, v[9:12]
	ds_store_b128 v13, v[1:4] offset:1536
	ds_store_b128 v13, v[5:8] offset:3072
.LBB0_26:
	s_wait_alu 0xfffe
	s_or_b32 exec_lo, exec_lo, s18
	global_wb scope:SCOPE_SE
	s_wait_dscnt 0x0
	s_barrier_signal -1
	s_barrier_wait -1
	global_inv scope:SCOPE_SE
	ds_load_b128 v[29:32], v59
	ds_load_b128 v[49:52], v59 offset:4608
	ds_load_b128 v[45:48], v59 offset:9216
	;; [unrolled: 1-line block ×6, first 2 shown]
	v_cmp_gt_u32_e32 vcc_lo, 36, v0
                                        ; implicit-def: $vgpr27_vgpr28
                                        ; implicit-def: $vgpr23_vgpr24
                                        ; implicit-def: $vgpr19_vgpr20
                                        ; implicit-def: $vgpr15_vgpr16
                                        ; implicit-def: $vgpr11_vgpr12
	s_and_saveexec_b32 s18, vcc_lo
	s_cbranch_execz .LBB0_28
; %bb.27:
	v_add_nc_u32_e32 v1, 0xfc0, v59
	ds_load_b128 v[5:8], v59 offset:8640
	ds_load_b128 v[9:12], v59 offset:13248
	;; [unrolled: 1-line block ×4, first 2 shown]
	ds_load_b128 v[1:4], v1
	ds_load_b128 v[21:24], v59 offset:27072
	ds_load_b128 v[25:28], v59 offset:31680
.LBB0_28:
	s_wait_alu 0xfffe
	s_or_b32 exec_lo, exec_lo, s18
	v_mul_lo_u16 v61, v57, 43
	s_mov_b32 s20, 0x37e14327
	s_mov_b32 s22, 0xe976ee23
	;; [unrolled: 1-line block ×4, first 2 shown]
	v_lshrrev_b16 v97, 11, v61
	s_mov_b32 s18, 0x429ad128
	s_mov_b32 s19, 0xbfebfeb5
	s_mov_b32 s28, 0x36b3c0b5
	s_mov_b32 s29, 0x3fac98ee
	v_mul_lo_u16 v61, v97, 48
	s_mov_b32 s24, 0xaaaaaaaa
	s_mov_b32 s34, 0xb247c609
	s_mov_b32 s25, 0xbff2aaaa
	s_mov_b32 s26, 0x5476071b
	v_sub_nc_u16 v61, v57, v61
	s_mov_b32 s35, 0xbfd5d0dc
	s_mov_b32 s27, 0x3fe77f67
	;; [unrolled: 1-line block ×4, first 2 shown]
	v_and_b32_e32 v61, 0xff, v61
	s_mov_b32 s30, s26
	s_mov_b32 s36, s34
	;; [unrolled: 1-line block ×4, first 2 shown]
	v_mad_co_u64_u32 v[81:82], null, 0x60, v61, s[16:17]
	s_clause 0x5
	global_load_b128 v[61:64], v[81:82], off offset:640
	global_load_b128 v[65:68], v[81:82], off offset:656
	;; [unrolled: 1-line block ×6, first 2 shown]
	global_wb scope:SCOPE_SE
	s_wait_loadcnt_dscnt 0x0
	s_barrier_signal -1
	s_barrier_wait -1
	global_inv scope:SCOPE_SE
	v_mul_f64_e32 v[85:86], v[51:52], v[63:64]
	v_mul_f64_e32 v[63:64], v[49:50], v[63:64]
	;; [unrolled: 1-line block ×12, first 2 shown]
	v_fma_f64 v[49:50], v[49:50], v[61:62], v[85:86]
	v_fma_f64 v[51:52], v[51:52], v[61:62], -v[63:64]
	v_fma_f64 v[45:46], v[45:46], v[65:66], v[87:88]
	v_fma_f64 v[47:48], v[47:48], v[65:66], -v[67:68]
	;; [unrolled: 2-line block ×6, first 2 shown]
	v_add_f64_e32 v[61:62], v[49:50], v[53:54]
	v_add_f64_e32 v[63:64], v[51:52], v[55:56]
	;; [unrolled: 1-line block ×4, first 2 shown]
	v_add_f64_e64 v[41:42], v[45:46], -v[41:42]
	v_add_f64_e64 v[43:44], v[47:48], -v[43:44]
	v_add_f64_e32 v[45:46], v[37:38], v[33:34]
	v_add_f64_e32 v[47:48], v[39:40], v[35:36]
	v_add_f64_e64 v[33:34], v[33:34], -v[37:38]
	v_add_f64_e64 v[35:36], v[35:36], -v[39:40]
	;; [unrolled: 1-line block ×4, first 2 shown]
	v_add_f64_e32 v[49:50], v[65:66], v[61:62]
	v_add_f64_e32 v[51:52], v[67:68], v[63:64]
	v_add_f64_e64 v[53:54], v[61:62], -v[45:46]
	v_add_f64_e64 v[55:56], v[63:64], -v[47:48]
	;; [unrolled: 1-line block ×6, first 2 shown]
	v_add_f64_e32 v[41:42], v[33:34], v[41:42]
	v_add_f64_e32 v[43:44], v[35:36], v[43:44]
	v_add_f64_e64 v[33:34], v[37:38], -v[33:34]
	v_add_f64_e64 v[35:36], v[39:40], -v[35:36]
	;; [unrolled: 1-line block ×4, first 2 shown]
	v_add_f64_e32 v[49:50], v[45:46], v[49:50]
	v_add_f64_e32 v[51:52], v[47:48], v[51:52]
	v_add_f64_e64 v[45:46], v[45:46], -v[65:66]
	v_add_f64_e64 v[47:48], v[47:48], -v[67:68]
	s_wait_alu 0xfffe
	v_mul_f64_e32 v[53:54], s[20:21], v[53:54]
	v_mul_f64_e32 v[55:56], s[20:21], v[55:56]
	;; [unrolled: 1-line block ×6, first 2 shown]
	v_add_f64_e32 v[37:38], v[41:42], v[37:38]
	v_add_f64_e32 v[39:40], v[43:44], v[39:40]
	;; [unrolled: 1-line block ×4, first 2 shown]
	v_mul_f64_e32 v[65:66], s[28:29], v[45:46]
	v_mul_f64_e32 v[67:68], s[28:29], v[47:48]
	v_fma_f64 v[41:42], v[45:46], s[28:29], v[53:54]
	v_fma_f64 v[43:44], v[47:48], s[28:29], v[55:56]
	;; [unrolled: 1-line block ×4, first 2 shown]
	v_fma_f64 v[69:70], v[73:74], s[18:19], -v[69:70]
	v_fma_f64 v[71:72], v[75:76], s[18:19], -v[71:72]
	;; [unrolled: 1-line block ×6, first 2 shown]
	v_fma_f64 v[49:50], v[49:50], s[24:25], v[29:30]
	v_fma_f64 v[51:52], v[51:52], s[24:25], v[31:32]
	v_fma_f64 v[61:62], v[61:62], s[26:27], -v[65:66]
	v_fma_f64 v[63:64], v[63:64], s[26:27], -v[67:68]
	v_fma_f64 v[65:66], v[37:38], s[38:39], v[45:46]
	v_fma_f64 v[67:68], v[39:40], s[38:39], v[47:48]
	;; [unrolled: 1-line block ×6, first 2 shown]
	v_add_f64_e32 v[73:74], v[41:42], v[49:50]
	v_add_f64_e32 v[75:76], v[43:44], v[51:52]
	;; [unrolled: 1-line block ×6, first 2 shown]
	v_and_b32_e32 v61, 0xffff, v97
	s_delay_alu instid0(VALU_DEP_1) | instskip(NEXT) | instid1(VALU_DEP_1)
	v_mad_u32_u24 v57, 0x120, v61, v57
	v_mul_u32_u24_e32 v57, 0x60, v57
	s_delay_alu instid0(VALU_DEP_1)
	v_add3_u32 v57, 0, v57, v60
	v_add_f64_e32 v[33:34], v[67:68], v[73:74]
	v_add_f64_e64 v[35:36], v[75:76], -v[65:66]
	v_add_f64_e32 v[37:38], v[71:72], v[53:54]
	v_add_f64_e64 v[39:40], v[55:56], -v[69:70]
	v_add_f64_e64 v[41:42], v[49:50], -v[45:46]
	v_add_f64_e32 v[43:44], v[47:48], v[51:52]
	v_add_f64_e32 v[45:46], v[45:46], v[49:50]
	v_add_f64_e64 v[47:48], v[51:52], -v[47:48]
	v_add_f64_e64 v[49:50], v[53:54], -v[71:72]
	v_add_f64_e32 v[51:52], v[69:70], v[55:56]
	v_add_f64_e64 v[53:54], v[73:74], -v[67:68]
	v_add_f64_e32 v[55:56], v[65:66], v[75:76]
	ds_store_b128 v57, v[29:32]
	ds_store_b128 v57, v[33:36] offset:4608
	ds_store_b128 v57, v[37:40] offset:9216
	;; [unrolled: 1-line block ×6, first 2 shown]
	s_and_saveexec_b32 s40, vcc_lo
	s_cbranch_execz .LBB0_30
; %bb.29:
	v_mul_lo_u16 v29, v58, 43
	s_delay_alu instid0(VALU_DEP_1) | instskip(NEXT) | instid1(VALU_DEP_1)
	v_lshrrev_b16 v29, 11, v29
	v_mul_lo_u16 v29, v29, 48
	s_delay_alu instid0(VALU_DEP_1) | instskip(NEXT) | instid1(VALU_DEP_1)
	v_sub_nc_u16 v29, v58, v29
	v_and_b32_e32 v29, 0xff, v29
	s_delay_alu instid0(VALU_DEP_1) | instskip(SKIP_1) | instid1(VALU_DEP_2)
	v_mul_u32_u24_e32 v30, 0x60, v29
	v_mul_hi_u32_u24_e32 v29, 0x60, v29
	v_add_co_u32 v49, vcc_lo, s16, v30
	s_wait_alu 0xfffd
	s_delay_alu instid0(VALU_DEP_2)
	v_add_co_ci_u32_e32 v50, vcc_lo, s17, v29, vcc_lo
	s_clause 0x5
	global_load_b128 v[29:32], v[49:50], off offset:656
	global_load_b128 v[33:36], v[49:50], off offset:704
	global_load_b128 v[37:40], v[49:50], off offset:640
	global_load_b128 v[41:44], v[49:50], off offset:720
	global_load_b128 v[45:48], v[49:50], off offset:688
	global_load_b128 v[49:52], v[49:50], off offset:672
	s_wait_loadcnt 0x5
	v_mul_f64_e32 v[53:54], v[9:10], v[31:32]
	s_wait_loadcnt 0x4
	v_mul_f64_e32 v[55:56], v[21:22], v[35:36]
	;; [unrolled: 2-line block ×4, first 2 shown]
	v_mul_f64_e32 v[31:32], v[11:12], v[31:32]
	v_mul_f64_e32 v[35:36], v[23:24], v[35:36]
	;; [unrolled: 1-line block ×4, first 2 shown]
	s_wait_loadcnt 0x1
	v_mul_f64_e32 v[62:63], v[19:20], v[47:48]
	s_wait_loadcnt 0x0
	v_mul_f64_e32 v[64:65], v[15:16], v[51:52]
	v_mul_f64_e32 v[51:52], v[13:14], v[51:52]
	;; [unrolled: 1-line block ×3, first 2 shown]
	v_fma_f64 v[11:12], v[11:12], v[29:30], -v[53:54]
	v_fma_f64 v[23:24], v[23:24], v[33:34], -v[55:56]
	;; [unrolled: 1-line block ×4, first 2 shown]
	v_fma_f64 v[9:10], v[9:10], v[29:30], v[31:32]
	v_fma_f64 v[21:22], v[21:22], v[33:34], v[35:36]
	;; [unrolled: 1-line block ×6, first 2 shown]
	v_fma_f64 v[15:16], v[15:16], v[49:50], -v[51:52]
	v_fma_f64 v[19:20], v[19:20], v[45:46], -v[47:48]
	v_add_f64_e32 v[29:30], v[11:12], v[23:24]
	v_add_f64_e64 v[11:12], v[11:12], -v[23:24]
	v_add_f64_e32 v[31:32], v[7:8], v[27:28]
	v_add_f64_e64 v[7:8], v[7:8], -v[27:28]
	;; [unrolled: 2-line block ×4, first 2 shown]
	v_add_f64_e64 v[37:38], v[17:18], -v[13:14]
	v_add_f64_e32 v[13:14], v[13:14], v[17:18]
	v_add_f64_e32 v[21:22], v[15:16], v[19:20]
	v_add_f64_e64 v[15:16], v[19:20], -v[15:16]
	v_add_f64_e32 v[17:18], v[29:30], v[31:32]
	v_add_f64_e64 v[43:44], v[11:12], -v[7:8]
	;; [unrolled: 2-line block ×3, first 2 shown]
	v_add_f64_e64 v[23:24], v[37:38], -v[9:10]
	v_add_f64_e64 v[27:28], v[35:36], -v[13:14]
	;; [unrolled: 1-line block ×4, first 2 shown]
	v_add_f64_e32 v[9:10], v[37:38], v[9:10]
	v_add_f64_e64 v[37:38], v[5:6], -v[37:38]
	v_add_f64_e32 v[11:12], v[15:16], v[11:12]
	v_add_f64_e64 v[15:16], v[7:8], -v[15:16]
	;; [unrolled: 2-line block ×3, first 2 shown]
	v_add_f64_e64 v[29:30], v[29:30], -v[31:32]
	v_mul_f64_e32 v[47:48], s[18:19], v[43:44]
	v_add_f64_e32 v[19:20], v[13:14], v[19:20]
	v_add_f64_e64 v[13:14], v[13:14], -v[33:34]
	v_mul_f64_e32 v[23:24], s[22:23], v[23:24]
	v_mul_f64_e32 v[27:28], s[20:21], v[27:28]
	;; [unrolled: 1-line block ×5, first 2 shown]
	v_add_f64_e64 v[33:34], v[33:34], -v[35:36]
	v_add_f64_e32 v[5:6], v[9:10], v[5:6]
	v_add_f64_e32 v[7:8], v[11:12], v[7:8]
	;; [unrolled: 1-line block ×3, first 2 shown]
	v_mul_f64_e32 v[31:32], s[28:29], v[21:22]
	v_add_f64_e32 v[1:2], v[1:2], v[19:20]
	v_mul_f64_e32 v[35:36], s[28:29], v[13:14]
	v_fma_f64 v[9:10], v[37:38], s[34:35], v[23:24]
	v_fma_f64 v[13:14], v[13:14], s[28:29], v[27:28]
	v_fma_f64 v[11:12], v[21:22], s[28:29], v[25:26]
	v_fma_f64 v[21:22], v[37:38], s[36:37], -v[45:46]
	v_fma_f64 v[23:24], v[39:40], s[18:19], -v[23:24]
	;; [unrolled: 1-line block ×5, first 2 shown]
	v_fma_f64 v[17:18], v[17:18], s[24:25], v[3:4]
	v_fma_f64 v[29:30], v[29:30], s[26:27], -v[31:32]
	v_fma_f64 v[31:32], v[15:16], s[34:35], v[41:42]
	v_fma_f64 v[15:16], v[15:16], s[36:37], -v[47:48]
	;; [unrolled: 2-line block ×3, first 2 shown]
	v_fma_f64 v[9:10], v[5:6], s[38:39], v[9:10]
	v_fma_f64 v[21:22], v[5:6], s[38:39], v[21:22]
	;; [unrolled: 1-line block ×4, first 2 shown]
	v_add_f64_e32 v[35:36], v[11:12], v[17:18]
	v_add_f64_e32 v[23:24], v[25:26], v[17:18]
	;; [unrolled: 1-line block ×3, first 2 shown]
	v_fma_f64 v[29:30], v[7:8], s[38:39], v[31:32]
	v_add_f64_e32 v[39:40], v[13:14], v[19:20]
	v_fma_f64 v[31:32], v[7:8], s[38:39], v[15:16]
	v_add_f64_e32 v[41:42], v[27:28], v[19:20]
	v_add_f64_e32 v[13:14], v[33:34], v[19:20]
	v_add_f64_e64 v[27:28], v[35:36], -v[9:10]
	v_add_f64_e32 v[11:12], v[21:22], v[23:24]
	v_add_f64_e64 v[23:24], v[23:24], -v[21:22]
	v_add_f64_e64 v[15:16], v[17:18], -v[5:6]
	v_add_f64_e32 v[25:26], v[29:30], v[39:40]
	v_add_f64_e32 v[19:20], v[5:6], v[17:18]
	;; [unrolled: 1-line block ×3, first 2 shown]
	v_add_f64_e64 v[17:18], v[13:14], -v[37:38]
	v_add_f64_e32 v[13:14], v[37:38], v[13:14]
	v_add_f64_e32 v[7:8], v[9:10], v[35:36]
	v_add_f64_e64 v[9:10], v[41:42], -v[31:32]
	v_add_f64_e64 v[5:6], v[39:40], -v[29:30]
	ds_store_b128 v59, v[1:4] offset:4032
	ds_store_b128 v59, v[25:28] offset:8640
	;; [unrolled: 1-line block ×7, first 2 shown]
.LBB0_30:
	s_or_b32 exec_lo, exec_lo, s40
	s_load_b64 s[16:17], s[0:1], 0x58
	s_mul_u64 s[0:1], s[6:7], s[14:15]
	s_mul_u64 s[2:3], s[8:9], s[2:3]
	s_and_not1_b32 vcc_lo, exec_lo, s33
	s_wait_alu 0xfffe
	s_add_nc_u64 s[0:1], s[2:3], s[0:1]
	s_mul_u64 s[2:3], s[10:11], s[12:13]
	global_wb scope:SCOPE_SE
	s_wait_dscnt 0x0
	s_wait_alu 0xfffe
	s_add_nc_u64 s[2:3], s[2:3], s[0:1]
	s_mov_b32 s0, -1
	s_wait_kmcnt 0x0
	s_barrier_signal -1
	s_barrier_wait -1
	global_inv scope:SCOPE_SE
	s_cbranch_vccz .LBB0_33
; %bb.31:
	s_and_b32 vcc_lo, exec_lo, s0
	s_wait_alu 0xfffe
	s_cbranch_vccnz .LBB0_36
.LBB0_32:
	s_nop 0
	s_sendmsg sendmsg(MSG_DEALLOC_VGPRS)
	s_endpgm
.LBB0_33:
	v_mov_b32_e32 v1, v0
	s_wait_alu 0xfffe
	s_lshl_b64 s[0:1], s[2:3], 4
	s_delay_alu instid0(SALU_CYCLE_1)
	s_add_nc_u64 s[8:9], s[16:17], s[0:1]
	s_mov_b32 s1, 0
.LBB0_34:                               ; =>This Inner Loop Header: Depth=1
	v_lshrrev_b16 v2, 4, v1
	s_delay_alu instid0(VALU_DEP_1) | instskip(NEXT) | instid1(VALU_DEP_1)
	v_and_b32_e32 v2, 0xffff, v2
	v_mul_u32_u24_e32 v2, 0xc31, v2
	s_delay_alu instid0(VALU_DEP_1) | instskip(NEXT) | instid1(VALU_DEP_1)
	v_lshrrev_b32_e32 v5, 16, v2
	v_mul_lo_u16 v2, 0x150, v5
	v_mad_co_u64_u32 v[6:7], null, s6, v5, 0
	s_delay_alu instid0(VALU_DEP_2) | instskip(SKIP_1) | instid1(VALU_DEP_2)
	v_sub_nc_u16 v3, v1, v2
	v_add_nc_u32_e32 v1, 0xfc, v1
	v_and_b32_e32 v4, 0xffff, v3
	v_mad_u16 v3, v3, 6, v5
	v_mov_b32_e32 v2, v7
	s_delay_alu instid0(VALU_DEP_3) | instskip(NEXT) | instid1(VALU_DEP_3)
	v_mad_co_u64_u32 v[8:9], null, s4, v4, 0
	v_and_b32_e32 v7, 0xffff, v3
	s_delay_alu instid0(VALU_DEP_1) | instskip(NEXT) | instid1(VALU_DEP_3)
	v_lshl_add_u32 v7, v7, 4, 0
	v_mov_b32_e32 v3, v9
	s_delay_alu instid0(VALU_DEP_1) | instskip(NEXT) | instid1(VALU_DEP_1)
	v_mad_co_u64_u32 v[3:4], null, s5, v4, v[3:4]
	v_mad_co_u64_u32 v[10:11], null, s7, v5, v[2:3]
	v_mov_b32_e32 v9, v3
	ds_load_b128 v[2:5], v7
	v_lshlrev_b64_e32 v[8:9], 4, v[8:9]
	v_mov_b32_e32 v7, v10
	s_wait_alu 0xfffe
	s_delay_alu instid0(VALU_DEP_2) | instskip(NEXT) | instid1(VALU_DEP_2)
	v_add_co_u32 v8, vcc_lo, s8, v8
	v_lshlrev_b64_e32 v[6:7], 4, v[6:7]
	s_wait_alu 0xfffd
	v_add_co_ci_u32_e32 v9, vcc_lo, s9, v9, vcc_lo
	v_cmp_lt_u32_e32 vcc_lo, 0x7df, v1
	s_delay_alu instid0(VALU_DEP_3) | instskip(SKIP_1) | instid1(VALU_DEP_3)
	v_add_co_u32 v6, s0, v8, v6
	s_wait_alu 0xf1ff
	v_add_co_ci_u32_e64 v7, s0, v9, v7, s0
	s_or_b32 s1, vcc_lo, s1
	s_wait_dscnt 0x0
	global_store_b128 v[6:7], v[2:5], off
	s_wait_alu 0xfffe
	s_and_not1_b32 exec_lo, exec_lo, s1
	s_cbranch_execnz .LBB0_34
; %bb.35:
	s_or_b32 exec_lo, exec_lo, s1
	s_branch .LBB0_32
.LBB0_36:
	v_add_nc_u16 v1, v0, 0xfc
	v_add_nc_u16 v8, v0, 0x1f8
	v_mul_lo_u16 v3, v0, 6
	v_add_nc_u16 v19, v0, 0x2f4
	s_lshl_b64 s[0:1], s[2:3], 4
	v_and_b32_e32 v2, 0xffff, v1
	v_and_b32_e32 v4, 0xffff, v8
	s_add_nc_u64 s[0:1], s[16:17], s[0:1]
	v_add_nc_u16 v25, v0, 0x6e4
	s_delay_alu instid0(VALU_DEP_3) | instskip(NEXT) | instid1(VALU_DEP_1)
	v_mul_u32_u24_e32 v2, 0x187, v2
	v_lshrrev_b32_e32 v13, 17, v2
	v_and_b32_e32 v2, 0xffff, v3
	v_mul_u32_u24_e32 v3, 0x619, v4
	v_and_b32_e32 v4, 0xffff, v19
	s_delay_alu instid0(VALU_DEP_4) | instskip(SKIP_1) | instid1(VALU_DEP_4)
	v_mul_lo_u16 v9, 0x150, v13
	v_mul_lo_u32 v17, s7, v13
	v_lshrrev_b32_e32 v20, 19, v3
	v_lshl_add_u32 v2, v2, 4, 0
	v_mul_u32_u24_e32 v15, 0x619, v4
	v_sub_nc_u16 v9, v1, v9
	s_delay_alu instid0(VALU_DEP_4)
	v_mul_lo_u16 v10, 0x150, v20
	ds_load_b128 v[1:4], v2
	v_lshrrev_b32_e32 v23, 19, v15
	v_mul_lo_u16 v14, v9, 6
	v_and_b32_e32 v16, 0xffff, v9
	v_sub_nc_u16 v18, v8, v10
	v_mad_co_u64_u32 v[9:10], null, s6, v13, 0
	s_delay_alu instid0(VALU_DEP_4) | instskip(SKIP_1) | instid1(VALU_DEP_4)
	v_or_b32_e32 v22, v14, v13
	v_mad_co_u64_u32 v[11:12], null, s6, v20, 0
	v_and_b32_e32 v21, 0xffff, v18
	s_delay_alu instid0(VALU_DEP_3) | instskip(SKIP_1) | instid1(VALU_DEP_3)
	v_and_b32_e32 v22, 0xffff, v22
	v_or_b32_e32 v10, v10, v17
	v_mad_co_u64_u32 v[13:14], null, s4, v21, 0
	v_and_b32_e32 v7, 0xffff, v0
	s_delay_alu instid0(VALU_DEP_4) | instskip(NEXT) | instid1(VALU_DEP_2)
	v_lshl_add_u32 v22, v22, 4, 0
	v_mad_co_u64_u32 v[5:6], null, s4, v7, 0
	s_delay_alu instid0(VALU_DEP_1) | instskip(SKIP_1) | instid1(VALU_DEP_2)
	v_mad_co_u64_u32 v[6:7], null, s5, v7, v[6:7]
	v_mad_co_u64_u32 v[7:8], null, s4, v16, 0
	v_lshlrev_b64_e32 v[5:6], 4, v[5:6]
	s_delay_alu instid0(VALU_DEP_2) | instskip(SKIP_1) | instid1(VALU_DEP_3)
	v_mad_co_u64_u32 v[15:16], null, s5, v16, v[8:9]
	v_mov_b32_e32 v8, v14
	v_add_co_u32 v14, vcc_lo, s0, v5
	s_delay_alu instid0(VALU_DEP_2) | instskip(NEXT) | instid1(VALU_DEP_4)
	v_mad_co_u64_u32 v[16:17], null, s5, v21, v[8:9]
	v_mov_b32_e32 v8, v15
	v_mad_u16 v21, v18, 6, v20
	s_wait_alu 0xfffd
	v_add_co_ci_u32_e32 v15, vcc_lo, s1, v6, vcc_lo
	v_lshlrev_b64_e32 v[9:10], 4, v[9:10]
	v_lshlrev_b64_e32 v[17:18], 4, v[7:8]
	ds_load_b128 v[5:8], v22
	s_wait_dscnt 0x1
	global_store_b128 v[14:15], v[1:4], off
	v_mad_co_u64_u32 v[1:2], null, s7, v20, v[12:13]
	v_mul_lo_u16 v12, 0x150, v23
	v_add_co_u32 v3, vcc_lo, s0, v17
	v_add_nc_u16 v17, v0, 0x3f0
	v_mov_b32_e32 v14, v16
	s_wait_alu 0xfffd
	v_add_co_ci_u32_e32 v4, vcc_lo, s1, v18, vcc_lo
	v_sub_nc_u16 v18, v19, v12
	v_and_b32_e32 v15, 0xffff, v17
	v_lshlrev_b64_e32 v[13:14], 4, v[13:14]
	v_add_co_u32 v9, vcc_lo, v3, v9
	s_delay_alu instid0(VALU_DEP_4) | instskip(NEXT) | instid1(VALU_DEP_4)
	v_dual_mov_b32 v12, v1 :: v_dual_and_b32 v19, 0xffff, v18
	v_mul_u32_u24_e32 v15, 0x619, v15
	v_and_b32_e32 v2, 0xffff, v21
	s_wait_alu 0xfffd
	v_add_co_ci_u32_e32 v10, vcc_lo, v4, v10, vcc_lo
	v_add_co_u32 v20, vcc_lo, s0, v13
	v_lshrrev_b32_e32 v22, 19, v15
	s_wait_alu 0xfffd
	v_add_co_ci_u32_e32 v21, vcc_lo, s1, v14, vcc_lo
	v_lshlrev_b64_e32 v[11:12], 4, v[11:12]
	v_mad_co_u64_u32 v[13:14], null, s4, v19, 0
	v_mad_co_u64_u32 v[15:16], null, s6, v23, 0
	v_lshl_add_u32 v2, v2, 4, 0
	v_mad_u16 v18, v18, 6, v23
	v_mul_lo_u16 v24, 0x150, v22
	v_add_co_u32 v11, vcc_lo, v20, v11
	ds_load_b128 v[1:4], v2
	s_wait_alu 0xfffd
	v_add_co_ci_u32_e32 v12, vcc_lo, v21, v12, vcc_lo
	v_sub_nc_u16 v21, v17, v24
	v_and_b32_e32 v20, 0xffff, v18
	v_mad_co_u64_u32 v[17:18], null, s5, v19, v[14:15]
	s_wait_dscnt 0x1
	global_store_b128 v[9:10], v[5:8], off
	v_and_b32_e32 v24, 0xffff, v21
	v_mad_co_u64_u32 v[18:19], null, s7, v23, v[16:17]
	v_add_nc_u16 v23, v0, 0x4ec
	v_lshl_add_u32 v16, v20, 4, 0
	v_mov_b32_e32 v14, v17
	v_mad_co_u64_u32 v[19:20], null, s4, v24, 0
	s_delay_alu instid0(VALU_DEP_4)
	v_and_b32_e32 v9, 0xffff, v23
	ds_load_b128 v[5:8], v16
	s_wait_dscnt 0x1
	global_store_b128 v[11:12], v[1:4], off
	v_lshlrev_b64_e32 v[1:2], 4, v[13:14]
	v_mov_b32_e32 v16, v18
	v_mul_u32_u24_e32 v11, 0x619, v9
	v_mad_co_u64_u32 v[9:10], null, s6, v22, 0
	v_mov_b32_e32 v3, v20
	v_mad_u16 v14, v21, 6, v22
	s_delay_alu instid0(VALU_DEP_4) | instskip(NEXT) | instid1(VALU_DEP_3)
	v_lshrrev_b32_e32 v12, 19, v11
	v_mad_co_u64_u32 v[3:4], null, s5, v24, v[3:4]
	v_add_co_u32 v4, vcc_lo, s0, v1
	v_mov_b32_e32 v1, v10
	v_lshlrev_b64_e32 v[10:11], 4, v[15:16]
	v_mul_lo_u16 v15, 0x150, v12
	s_wait_alu 0xfffd
	v_add_co_ci_u32_e32 v13, vcc_lo, s1, v2, vcc_lo
	v_mad_co_u64_u32 v[1:2], null, s7, v22, v[1:2]
	s_delay_alu instid0(VALU_DEP_3)
	v_sub_nc_u16 v15, v23, v15
	v_add_co_u32 v21, vcc_lo, v4, v10
	v_mov_b32_e32 v20, v3
	v_and_b32_e32 v2, 0xffff, v14
	s_wait_alu 0xfffd
	v_add_co_ci_u32_e32 v22, vcc_lo, v13, v11, vcc_lo
	v_and_b32_e32 v11, 0xffff, v15
	v_add_nc_u16 v16, v0, 0x5e8
	v_mov_b32_e32 v10, v1
	v_lshl_add_u32 v17, v2, 4, 0
	v_lshlrev_b64_e32 v[1:2], 4, v[19:20]
	v_mad_co_u64_u32 v[3:4], null, s4, v11, 0
	v_mad_co_u64_u32 v[13:14], null, s6, v12, 0
	v_and_b32_e32 v18, 0xffff, v16
	s_delay_alu instid0(VALU_DEP_4)
	v_add_co_u32 v19, vcc_lo, s0, v1
	s_wait_alu 0xfffd
	v_add_co_ci_u32_e32 v20, vcc_lo, s1, v2, vcc_lo
	v_lshlrev_b64_e32 v[1:2], 4, v[9:10]
	v_mul_u32_u24_e32 v18, 0x619, v18
	v_mov_b32_e32 v0, v14
	s_wait_dscnt 0x0
	v_mad_co_u64_u32 v[9:10], null, s5, v11, v[4:5]
	v_and_b32_e32 v4, 0xffff, v25
	v_lshrrev_b32_e32 v29, 19, v18
	v_mad_co_u64_u32 v[10:11], null, s7, v12, v[0:1]
	v_mad_u16 v0, v15, 6, v12
	s_delay_alu instid0(VALU_DEP_4) | instskip(NEXT) | instid1(VALU_DEP_4)
	v_mul_u32_u24_e32 v12, 0x619, v4
	v_mul_lo_u16 v11, 0x150, v29
	v_mov_b32_e32 v4, v9
	v_add_co_u32 v23, vcc_lo, v19, v1
	s_delay_alu instid0(VALU_DEP_4)
	v_lshrrev_b32_e32 v31, 19, v12
	s_wait_alu 0xfffd
	v_add_co_ci_u32_e32 v24, vcc_lo, v20, v2, vcc_lo
	v_sub_nc_u16 v20, v16, v11
	v_and_b32_e32 v0, 0xffff, v0
	v_lshlrev_b64_e32 v[15:16], 4, v[3:4]
	v_mul_lo_u16 v4, 0x150, v31
	s_delay_alu instid0(VALU_DEP_4) | instskip(NEXT) | instid1(VALU_DEP_4)
	v_dual_mov_b32 v14, v10 :: v_dual_and_b32 v19, 0xffff, v20
	v_lshl_add_u32 v9, v0, 4, 0
	ds_load_b128 v[0:3], v17
	ds_load_b128 v[9:12], v9
	v_sub_nc_u16 v32, v25, v4
	v_mad_co_u64_u32 v[17:18], null, s4, v19, 0
	v_mad_co_u64_u32 v[25:26], null, s6, v29, 0
	s_delay_alu instid0(VALU_DEP_3)
	v_and_b32_e32 v33, 0xffff, v32
	v_add_co_u32 v27, vcc_lo, s0, v15
	v_lshlrev_b64_e32 v[13:14], 4, v[13:14]
	s_wait_alu 0xfffd
	v_add_co_ci_u32_e32 v28, vcc_lo, s1, v16, vcc_lo
	v_mad_co_u64_u32 v[15:16], null, s4, v33, 0
	v_mov_b32_e32 v4, v18
	s_delay_alu instid0(VALU_DEP_4)
	v_add_co_u32 v27, vcc_lo, v27, v13
	v_mov_b32_e32 v13, v26
	s_wait_alu 0xfffd
	v_add_co_ci_u32_e32 v28, vcc_lo, v28, v14, vcc_lo
	v_mad_co_u64_u32 v[18:19], null, s5, v19, v[4:5]
	v_mad_u16 v19, v20, 6, v29
	v_mov_b32_e32 v4, v16
	v_mad_co_u64_u32 v[13:14], null, s7, v29, v[13:14]
	v_mad_co_u64_u32 v[29:30], null, s6, v31, 0
	v_mad_u16 v16, v32, 6, v31
	v_and_b32_e32 v14, 0xffff, v19
	v_mad_co_u64_u32 v[19:20], null, s5, v33, v[4:5]
	v_mov_b32_e32 v26, v13
	s_delay_alu instid0(VALU_DEP_4)
	v_and_b32_e32 v32, 0xffff, v16
	v_mov_b32_e32 v4, v30
	v_lshl_add_u32 v20, v14, 4, 0
	v_lshlrev_b64_e32 v[13:14], 4, v[17:18]
	v_lshlrev_b64_e32 v[25:26], 4, v[25:26]
	v_mov_b32_e32 v16, v19
	v_mad_co_u64_u32 v[30:31], null, s7, v31, v[4:5]
	v_lshl_add_u32 v4, v32, 4, 0
	v_add_co_u32 v33, vcc_lo, s0, v13
	s_wait_alu 0xfffd
	v_add_co_ci_u32_e32 v34, vcc_lo, s1, v14, vcc_lo
	v_lshlrev_b64_e32 v[31:32], 4, v[15:16]
	ds_load_b128 v[13:16], v20
	ds_load_b128 v[17:20], v4
	v_lshlrev_b64_e32 v[29:30], 4, v[29:30]
	v_add_co_u32 v4, vcc_lo, s0, v31
	s_wait_alu 0xfffd
	v_add_co_ci_u32_e32 v31, vcc_lo, s1, v32, vcc_lo
	v_add_co_u32 v25, vcc_lo, v33, v25
	s_wait_alu 0xfffd
	v_add_co_ci_u32_e32 v26, vcc_lo, v34, v26, vcc_lo
	;; [unrolled: 3-line block ×3, first 2 shown]
	global_store_b128 v[21:22], v[5:8], off
	s_wait_dscnt 0x3
	global_store_b128 v[23:24], v[0:3], off
	s_wait_dscnt 0x2
	;; [unrolled: 2-line block ×4, first 2 shown]
	global_store_b128 v[29:30], v[17:20], off
	s_nop 0
	s_sendmsg sendmsg(MSG_DEALLOC_VGPRS)
	s_endpgm
	.section	.rodata,"a",@progbits
	.p2align	6, 0x0
	.amdhsa_kernel fft_rtc_back_len336_factors_8_2_3_7_wgs_252_tpt_42_dim3_dp_op_CI_CI_sbcr_dirReg_intrinsicReadWrite
		.amdhsa_group_segment_fixed_size 0
		.amdhsa_private_segment_fixed_size 0
		.amdhsa_kernarg_size 96
		.amdhsa_user_sgpr_count 2
		.amdhsa_user_sgpr_dispatch_ptr 0
		.amdhsa_user_sgpr_queue_ptr 0
		.amdhsa_user_sgpr_kernarg_segment_ptr 1
		.amdhsa_user_sgpr_dispatch_id 0
		.amdhsa_user_sgpr_private_segment_size 0
		.amdhsa_wavefront_size32 1
		.amdhsa_uses_dynamic_stack 0
		.amdhsa_enable_private_segment 0
		.amdhsa_system_sgpr_workgroup_id_x 1
		.amdhsa_system_sgpr_workgroup_id_y 0
		.amdhsa_system_sgpr_workgroup_id_z 0
		.amdhsa_system_sgpr_workgroup_info 0
		.amdhsa_system_vgpr_workitem_id 0
		.amdhsa_next_free_vgpr 98
		.amdhsa_next_free_sgpr 41
		.amdhsa_reserve_vcc 1
		.amdhsa_float_round_mode_32 0
		.amdhsa_float_round_mode_16_64 0
		.amdhsa_float_denorm_mode_32 3
		.amdhsa_float_denorm_mode_16_64 3
		.amdhsa_fp16_overflow 0
		.amdhsa_workgroup_processor_mode 1
		.amdhsa_memory_ordered 1
		.amdhsa_forward_progress 0
		.amdhsa_round_robin_scheduling 0
		.amdhsa_exception_fp_ieee_invalid_op 0
		.amdhsa_exception_fp_denorm_src 0
		.amdhsa_exception_fp_ieee_div_zero 0
		.amdhsa_exception_fp_ieee_overflow 0
		.amdhsa_exception_fp_ieee_underflow 0
		.amdhsa_exception_fp_ieee_inexact 0
		.amdhsa_exception_int_div_zero 0
	.end_amdhsa_kernel
	.text
.Lfunc_end0:
	.size	fft_rtc_back_len336_factors_8_2_3_7_wgs_252_tpt_42_dim3_dp_op_CI_CI_sbcr_dirReg_intrinsicReadWrite, .Lfunc_end0-fft_rtc_back_len336_factors_8_2_3_7_wgs_252_tpt_42_dim3_dp_op_CI_CI_sbcr_dirReg_intrinsicReadWrite
                                        ; -- End function
	.section	.AMDGPU.csdata,"",@progbits
; Kernel info:
; codeLenInByte = 8160
; NumSgprs: 43
; NumVgprs: 98
; ScratchSize: 0
; MemoryBound: 0
; FloatMode: 240
; IeeeMode: 1
; LDSByteSize: 0 bytes/workgroup (compile time only)
; SGPRBlocks: 5
; VGPRBlocks: 12
; NumSGPRsForWavesPerEU: 43
; NumVGPRsForWavesPerEU: 98
; Occupancy: 12
; WaveLimiterHint : 1
; COMPUTE_PGM_RSRC2:SCRATCH_EN: 0
; COMPUTE_PGM_RSRC2:USER_SGPR: 2
; COMPUTE_PGM_RSRC2:TRAP_HANDLER: 0
; COMPUTE_PGM_RSRC2:TGID_X_EN: 1
; COMPUTE_PGM_RSRC2:TGID_Y_EN: 0
; COMPUTE_PGM_RSRC2:TGID_Z_EN: 0
; COMPUTE_PGM_RSRC2:TIDIG_COMP_CNT: 0
	.text
	.p2alignl 7, 3214868480
	.fill 96, 4, 3214868480
	.type	__hip_cuid_2bd5f570a688d47a,@object ; @__hip_cuid_2bd5f570a688d47a
	.section	.bss,"aw",@nobits
	.globl	__hip_cuid_2bd5f570a688d47a
__hip_cuid_2bd5f570a688d47a:
	.byte	0                               ; 0x0
	.size	__hip_cuid_2bd5f570a688d47a, 1

	.ident	"AMD clang version 19.0.0git (https://github.com/RadeonOpenCompute/llvm-project roc-6.4.0 25133 c7fe45cf4b819c5991fe208aaa96edf142730f1d)"
	.section	".note.GNU-stack","",@progbits
	.addrsig
	.addrsig_sym __hip_cuid_2bd5f570a688d47a
	.amdgpu_metadata
---
amdhsa.kernels:
  - .args:
      - .actual_access:  read_only
        .address_space:  global
        .offset:         0
        .size:           8
        .value_kind:     global_buffer
      - .actual_access:  read_only
        .address_space:  global
        .offset:         8
        .size:           8
        .value_kind:     global_buffer
      - .actual_access:  read_only
        .address_space:  global
        .offset:         16
        .size:           8
        .value_kind:     global_buffer
      - .actual_access:  read_only
        .address_space:  global
        .offset:         24
        .size:           8
        .value_kind:     global_buffer
      - .offset:         32
        .size:           8
        .value_kind:     by_value
      - .actual_access:  read_only
        .address_space:  global
        .offset:         40
        .size:           8
        .value_kind:     global_buffer
      - .actual_access:  read_only
        .address_space:  global
        .offset:         48
        .size:           8
        .value_kind:     global_buffer
      - .offset:         56
        .size:           4
        .value_kind:     by_value
      - .actual_access:  read_only
        .address_space:  global
        .offset:         64
        .size:           8
        .value_kind:     global_buffer
      - .actual_access:  read_only
        .address_space:  global
        .offset:         72
        .size:           8
        .value_kind:     global_buffer
      - .actual_access:  read_only
        .address_space:  global
        .offset:         80
        .size:           8
        .value_kind:     global_buffer
      - .actual_access:  write_only
        .address_space:  global
        .offset:         88
        .size:           8
        .value_kind:     global_buffer
    .group_segment_fixed_size: 0
    .kernarg_segment_align: 8
    .kernarg_segment_size: 96
    .language:       OpenCL C
    .language_version:
      - 2
      - 0
    .max_flat_workgroup_size: 252
    .name:           fft_rtc_back_len336_factors_8_2_3_7_wgs_252_tpt_42_dim3_dp_op_CI_CI_sbcr_dirReg_intrinsicReadWrite
    .private_segment_fixed_size: 0
    .sgpr_count:     43
    .sgpr_spill_count: 0
    .symbol:         fft_rtc_back_len336_factors_8_2_3_7_wgs_252_tpt_42_dim3_dp_op_CI_CI_sbcr_dirReg_intrinsicReadWrite.kd
    .uniform_work_group_size: 1
    .uses_dynamic_stack: false
    .vgpr_count:     98
    .vgpr_spill_count: 0
    .wavefront_size: 32
    .workgroup_processor_mode: 1
amdhsa.target:   amdgcn-amd-amdhsa--gfx1201
amdhsa.version:
  - 1
  - 2
...

	.end_amdgpu_metadata
